;; amdgpu-corpus repo=zjin-lcf/HeCBench kind=compiled arch=gfx906 opt=O3
	.amdgcn_target "amdgcn-amd-amdhsa--gfx906"
	.amdhsa_code_object_version 6
	.section	.text._Z13surfel_renderIfEvPKT_iS0_iiPS0_,"axG",@progbits,_Z13surfel_renderIfEvPKT_iS0_iiPS0_,comdat
	.protected	_Z13surfel_renderIfEvPKT_iS0_iiPS0_ ; -- Begin function _Z13surfel_renderIfEvPKT_iS0_iiPS0_
	.globl	_Z13surfel_renderIfEvPKT_iS0_iiPS0_
	.p2align	8
	.type	_Z13surfel_renderIfEvPKT_iS0_iiPS0_,@function
_Z13surfel_renderIfEvPKT_iS0_iiPS0_:    ; @_Z13surfel_renderIfEvPKT_iS0_iiPS0_
; %bb.0:
	s_load_dword s0, s[4:5], 0x2c
	s_load_dwordx4 s[8:11], s[4:5], 0x8
	s_waitcnt lgkmcnt(0)
	s_lshr_b32 s1, s0, 16
	s_and_b32 s0, s0, 0xffff
	s_mul_i32 s6, s6, s0
	s_mul_i32 s7, s7, s1
	v_add_u32_e32 v0, s6, v0
	v_add_u32_e32 v1, s7, v1
	v_cmp_gt_i32_e32 vcc, s10, v0
	v_cmp_gt_i32_e64 s[0:1], s11, v1
	s_and_b64 s[0:1], vcc, s[0:1]
	s_and_saveexec_b64 s[2:3], s[0:1]
	s_cbranch_execz .LBB0_6
; %bb.1:
	s_load_dwordx2 s[6:7], s[4:5], 0x18
	s_cmp_lt_i32 s8, 1
	s_cbranch_scc1 .LBB0_4
; %bb.2:
	s_load_dwordx2 s[0:1], s[4:5], 0x0
	s_add_i32 s2, s10, -1
	v_cvt_f32_i32_e32 v2, s2
	s_add_i32 s2, s11, -1
	v_cvt_f32_i32_e32 v3, v0
	v_cvt_f32_i32_e32 v4, v1
	;; [unrolled: 1-line block ×3, first 2 shown]
	s_waitcnt lgkmcnt(0)
	s_add_u32 s4, s0, 12
	v_fmac_f32_e32 v3, -0.5, v2
	s_addc_u32 s5, s1, 0
	v_fmac_f32_e32 v4, -0.5, v5
	v_mov_b32_e32 v2, 0x60ad78ec
.LBB0_3:                                ; =>This Inner Loop Header: Depth=1
	s_add_u32 s12, s4, -12
	s_addc_u32 s13, s5, -1
	s_load_dwordx2 s[14:15], s[4:5], 0x4
	s_load_dwordx4 s[0:3], s[12:13], 0x0
	s_add_i32 s8, s8, -1
	s_waitcnt lgkmcnt(0)
	v_mov_b32_e32 v5, s14
	v_mov_b32_e32 v6, s3
	v_mul_f32_e32 v8, s14, v4
	v_mul_f32_e32 v5, s1, v5
	v_mov_b32_e32 v7, s15
	v_fmac_f32_e32 v8, s3, v3
	v_fmac_f32_e32 v5, s0, v6
	;; [unrolled: 1-line block ×4, first 2 shown]
	v_div_scale_f32 v6, s[12:13], v8, v8, v5
	v_div_scale_f32 v7, vcc, v5, v8, v5
	s_load_dword s3, s[4:5], 0xc
	v_rcp_f32_e32 v9, v6
	v_fma_f32 v10, -v6, v9, 1.0
	v_fmac_f32_e32 v9, v10, v9
	v_mul_f32_e32 v10, v7, v9
	v_fma_f32 v11, -v6, v10, v7
	v_fmac_f32_e32 v10, v11, v9
	v_fma_f32 v6, -v6, v10, v7
	v_div_fmas_f32 v6, v6, v9, v10
	v_mov_b32_e32 v7, s2
	v_div_fixup_f32 v5, v6, v8, v5
	v_fma_f32 v8, v4, v5, -s1
	v_fma_f32 v6, v3, v5, -s0
	v_mul_f32_e32 v9, s9, v5
	v_fma_f32 v5, s9, v5, -v7
	v_mul_f32_e32 v7, v8, v8
	v_fmac_f32_e32 v7, v6, v6
	v_fmac_f32_e32 v7, v5, v5
	v_cmp_gt_f32_e32 vcc, v2, v9
	s_waitcnt lgkmcnt(0)
	v_cmp_gt_f32_e64 s[0:1], s3, v7
	s_and_b64 vcc, s[0:1], vcc
	s_add_u32 s4, s4, 28
	s_addc_u32 s5, s5, 0
	s_cmp_eq_u32 s8, 0
	v_cndmask_b32_e32 v2, v2, v9, vcc
	s_cbranch_scc0 .LBB0_3
	s_branch .LBB0_5
.LBB0_4:
	v_mov_b32_e32 v2, 0x60ad78ec
.LBB0_5:
	v_mad_u64_u32 v[0:1], s[0:1], v1, s10, v[0:1]
	s_mov_b32 s0, 0x42c80000
	v_cmp_nlt_f32_e32 vcc, s0, v2
	v_ashrrev_i32_e32 v1, 31, v0
	v_lshlrev_b64 v[0:1], 2, v[0:1]
	v_cndmask_b32_e32 v2, 0, v2, vcc
	s_waitcnt lgkmcnt(0)
	v_mov_b32_e32 v3, s7
	v_add_co_u32_e32 v0, vcc, s6, v0
	v_addc_co_u32_e32 v1, vcc, v3, v1, vcc
	global_store_dword v[0:1], v2, off
.LBB0_6:
	s_endpgm
	.section	.rodata,"a",@progbits
	.p2align	6, 0x0
	.amdhsa_kernel _Z13surfel_renderIfEvPKT_iS0_iiPS0_
		.amdhsa_group_segment_fixed_size 0
		.amdhsa_private_segment_fixed_size 0
		.amdhsa_kernarg_size 288
		.amdhsa_user_sgpr_count 6
		.amdhsa_user_sgpr_private_segment_buffer 1
		.amdhsa_user_sgpr_dispatch_ptr 0
		.amdhsa_user_sgpr_queue_ptr 0
		.amdhsa_user_sgpr_kernarg_segment_ptr 1
		.amdhsa_user_sgpr_dispatch_id 0
		.amdhsa_user_sgpr_flat_scratch_init 0
		.amdhsa_user_sgpr_private_segment_size 0
		.amdhsa_uses_dynamic_stack 0
		.amdhsa_system_sgpr_private_segment_wavefront_offset 0
		.amdhsa_system_sgpr_workgroup_id_x 1
		.amdhsa_system_sgpr_workgroup_id_y 1
		.amdhsa_system_sgpr_workgroup_id_z 0
		.amdhsa_system_sgpr_workgroup_info 0
		.amdhsa_system_vgpr_workitem_id 1
		.amdhsa_next_free_vgpr 12
		.amdhsa_next_free_sgpr 16
		.amdhsa_reserve_vcc 1
		.amdhsa_reserve_flat_scratch 0
		.amdhsa_float_round_mode_32 0
		.amdhsa_float_round_mode_16_64 0
		.amdhsa_float_denorm_mode_32 3
		.amdhsa_float_denorm_mode_16_64 3
		.amdhsa_dx10_clamp 1
		.amdhsa_ieee_mode 1
		.amdhsa_fp16_overflow 0
		.amdhsa_exception_fp_ieee_invalid_op 0
		.amdhsa_exception_fp_denorm_src 0
		.amdhsa_exception_fp_ieee_div_zero 0
		.amdhsa_exception_fp_ieee_overflow 0
		.amdhsa_exception_fp_ieee_underflow 0
		.amdhsa_exception_fp_ieee_inexact 0
		.amdhsa_exception_int_div_zero 0
	.end_amdhsa_kernel
	.section	.text._Z13surfel_renderIfEvPKT_iS0_iiPS0_,"axG",@progbits,_Z13surfel_renderIfEvPKT_iS0_iiPS0_,comdat
.Lfunc_end0:
	.size	_Z13surfel_renderIfEvPKT_iS0_iiPS0_, .Lfunc_end0-_Z13surfel_renderIfEvPKT_iS0_iiPS0_
                                        ; -- End function
	.set _Z13surfel_renderIfEvPKT_iS0_iiPS0_.num_vgpr, 12
	.set _Z13surfel_renderIfEvPKT_iS0_iiPS0_.num_agpr, 0
	.set _Z13surfel_renderIfEvPKT_iS0_iiPS0_.numbered_sgpr, 16
	.set _Z13surfel_renderIfEvPKT_iS0_iiPS0_.num_named_barrier, 0
	.set _Z13surfel_renderIfEvPKT_iS0_iiPS0_.private_seg_size, 0
	.set _Z13surfel_renderIfEvPKT_iS0_iiPS0_.uses_vcc, 1
	.set _Z13surfel_renderIfEvPKT_iS0_iiPS0_.uses_flat_scratch, 0
	.set _Z13surfel_renderIfEvPKT_iS0_iiPS0_.has_dyn_sized_stack, 0
	.set _Z13surfel_renderIfEvPKT_iS0_iiPS0_.has_recursion, 0
	.set _Z13surfel_renderIfEvPKT_iS0_iiPS0_.has_indirect_call, 0
	.section	.AMDGPU.csdata,"",@progbits
; Kernel info:
; codeLenInByte = 456
; TotalNumSgprs: 20
; NumVgprs: 12
; ScratchSize: 0
; MemoryBound: 0
; FloatMode: 240
; IeeeMode: 1
; LDSByteSize: 0 bytes/workgroup (compile time only)
; SGPRBlocks: 2
; VGPRBlocks: 2
; NumSGPRsForWavesPerEU: 20
; NumVGPRsForWavesPerEU: 12
; Occupancy: 10
; WaveLimiterHint : 0
; COMPUTE_PGM_RSRC2:SCRATCH_EN: 0
; COMPUTE_PGM_RSRC2:USER_SGPR: 6
; COMPUTE_PGM_RSRC2:TRAP_HANDLER: 0
; COMPUTE_PGM_RSRC2:TGID_X_EN: 1
; COMPUTE_PGM_RSRC2:TGID_Y_EN: 1
; COMPUTE_PGM_RSRC2:TGID_Z_EN: 0
; COMPUTE_PGM_RSRC2:TIDIG_COMP_CNT: 1
	.section	.text._Z18surfel_render_tileIfLi256EEvPKT_iS0_iiPS0_,"axG",@progbits,_Z18surfel_render_tileIfLi256EEvPKT_iS0_iiPS0_,comdat
	.protected	_Z18surfel_render_tileIfLi256EEvPKT_iS0_iiPS0_ ; -- Begin function _Z18surfel_render_tileIfLi256EEvPKT_iS0_iiPS0_
	.globl	_Z18surfel_render_tileIfLi256EEvPKT_iS0_iiPS0_
	.p2align	8
	.type	_Z18surfel_render_tileIfLi256EEvPKT_iS0_iiPS0_,@function
_Z18surfel_render_tileIfLi256EEvPKT_iS0_iiPS0_: ; @_Z18surfel_render_tileIfLi256EEvPKT_iS0_iiPS0_
; %bb.0:
	s_load_dword s0, s[4:5], 0x2c
	s_load_dwordx4 s[8:11], s[4:5], 0x8
	s_waitcnt lgkmcnt(0)
	s_lshr_b32 s1, s0, 16
	s_and_b32 s2, s0, 0xffff
	s_mul_i32 s6, s6, s2
	s_mul_i32 s7, s7, s1
	v_add_u32_e32 v2, s6, v0
	v_add_u32_e32 v3, s7, v1
	v_cmp_gt_i32_e32 vcc, s10, v2
	v_cmp_gt_i32_e64 s[0:1], s11, v3
	s_and_b64 s[0:1], vcc, s[0:1]
	s_and_saveexec_b64 s[6:7], s[0:1]
	s_cbranch_execz .LBB1_15
; %bb.1:
	s_load_dwordx2 s[6:7], s[4:5], 0x18
	s_cmp_lt_i32 s8, 1
	s_cbranch_scc1 .LBB1_13
; %bb.2:
	s_add_i32 s0, s10, -1
	v_cvt_f32_i32_e32 v6, s0
	s_add_i32 s0, s11, -1
	v_cvt_f32_i32_e32 v5, v3
	v_cvt_f32_i32_e32 v7, s0
	;; [unrolled: 1-line block ×3, first 2 shown]
	s_load_dwordx2 s[4:5], s[4:5], 0x0
	s_movk_i32 s0, 0x100
	v_fmac_f32_e32 v5, -0.5, v7
	v_mad_u32_u24 v7, v1, s2, v0
	v_mul_lo_u32 v8, v7, 28
	v_fmac_f32_e32 v4, -0.5, v6
	v_cmp_gt_u32_e64 s[0:1], s0, v7
	s_mov_b32 s11, 0
	v_mov_b32_e32 v6, 0x60ad78ec
	v_mov_b32_e32 v1, 0
	;; [unrolled: 1-line block ×3, first 2 shown]
	s_mov_b32 s12, s8
	s_branch .LBB1_4
.LBB1_3:                                ;   in Loop: Header=BB1_4 Depth=1
	s_addk_i32 s11, 0x100
	s_addk_i32 s12, 0xff00
	s_cmp_ge_i32 s11, s8
	s_cbranch_scc1 .LBB1_14
.LBB1_4:                                ; =>This Loop Header: Depth=1
                                        ;     Child Loop BB1_9 Depth 2
	v_or_b32_e32 v0, s11, v7
	v_cmp_gt_i32_e32 vcc, s8, v0
	s_and_b64 s[14:15], s[0:1], vcc
	s_and_saveexec_b64 s[2:3], s[14:15]
	s_cbranch_execz .LBB1_6
; %bb.5:                                ;   in Loop: Header=BB1_4 Depth=1
	v_mul_lo_u32 v0, v0, 7
	s_waitcnt lgkmcnt(0)
	v_mov_b32_e32 v12, s5
	v_lshlrev_b64 v[10:11], 2, v[0:1]
	v_add_co_u32_e32 v17, vcc, s4, v10
	v_addc_co_u32_e32 v18, vcc, v12, v11, vcc
	global_load_dwordx4 v[10:13], v[17:18], off
	global_load_dwordx3 v[14:16], v[17:18], off offset:16
	s_waitcnt vmcnt(1)
	ds_write2_b32 v8, v10, v11 offset1:1
	ds_write2_b32 v8, v12, v13 offset0:2 offset1:3
	s_waitcnt vmcnt(0)
	ds_write2_b32 v8, v14, v15 offset0:4 offset1:5
	ds_write_b32 v8, v16 offset:24
.LBB1_6:                                ;   in Loop: Header=BB1_4 Depth=1
	s_or_b64 exec, exec, s[2:3]
	s_cmp_le_i32 s8, s11
	s_waitcnt lgkmcnt(0)
	s_barrier
	s_cbranch_scc1 .LBB1_3
; %bb.7:                                ;   in Loop: Header=BB1_4 Depth=1
	v_med3_i32 v0, s12, 1, v9
	v_readfirstlane_b32 s13, v0
	s_cmp_lt_i32 s12, 2
	s_mov_b32 s2, 0
	s_cbranch_scc1 .LBB1_11
; %bb.8:                                ;   in Loop: Header=BB1_4 Depth=1
	s_and_b32 s15, s13, -2
	s_movk_i32 s14, 0xffc8
.LBB1_9:                                ;   Parent Loop BB1_4 Depth=1
                                        ; =>  This Inner Loop Header: Depth=2
	v_mov_b32_e32 v0, s14
	ds_read2_b64 v[10:13], v0 offset0:9 offset1:10
	ds_read2_b64 v[14:17], v0 offset0:7 offset1:8
	;; [unrolled: 1-line block ×3, first 2 shown]
	ds_read_b64 v[22:23], v0 offset:104
	s_add_i32 s14, s14, 56
	s_waitcnt lgkmcnt(3)
	v_mul_f32_e32 v0, v5, v10
	s_waitcnt lgkmcnt(2)
	v_mul_f32_e32 v10, v15, v10
	v_fmac_f32_e32 v0, v4, v17
	v_fmac_f32_e32 v10, v14, v17
	s_waitcnt lgkmcnt(1)
	v_mul_f32_e32 v24, v5, v21
	v_mul_f32_e32 v21, v18, v21
	v_fmac_f32_e32 v0, s9, v11
	v_fmac_f32_e32 v10, v16, v11
	;; [unrolled: 1-line block ×4, first 2 shown]
	v_div_scale_f32 v11, s[2:3], v0, v0, v10
	s_waitcnt lgkmcnt(0)
	v_fmac_f32_e32 v24, s9, v22
	v_fmac_f32_e32 v21, v19, v22
	v_div_scale_f32 v17, s[2:3], v24, v24, v21
	v_div_scale_f32 v20, vcc, v10, v0, v10
	s_add_i32 s15, s15, -2
	v_rcp_f32_e32 v22, v11
	v_rcp_f32_e32 v25, v17
	v_fma_f32 v26, -v11, v22, 1.0
	v_fmac_f32_e32 v22, v26, v22
	v_mul_f32_e32 v26, v20, v22
	v_fma_f32 v27, -v17, v25, 1.0
	v_fmac_f32_e32 v25, v27, v25
	v_fma_f32 v27, -v11, v26, v20
	v_fmac_f32_e32 v26, v27, v22
	v_div_scale_f32 v27, s[2:3], v21, v24, v21
	v_fma_f32 v11, -v11, v26, v20
	v_div_fmas_f32 v11, v11, v22, v26
	s_mov_b64 vcc, s[2:3]
	v_mul_f32_e32 v28, v27, v25
	v_fma_f32 v29, -v17, v28, v27
	v_fmac_f32_e32 v28, v29, v25
	v_fma_f32 v17, -v17, v28, v27
	v_div_fmas_f32 v17, v17, v25, v28
	v_div_fixup_f32 v0, v11, v0, v10
	v_fma_f32 v11, v4, v0, -v14
	v_fma_f32 v14, v5, v0, -v15
	v_mul_f32_e32 v14, v14, v14
	v_mul_f32_e32 v10, s9, v0
	v_fma_f32 v0, s9, v0, -v16
	v_fmac_f32_e32 v14, v11, v11
	v_fmac_f32_e32 v14, v0, v0
	v_cmp_lt_f32_e32 vcc, v10, v6
	v_cmp_lt_f32_e64 s[2:3], v14, v12
	s_and_b64 vcc, s[2:3], vcc
	v_cndmask_b32_e32 v0, v6, v10, vcc
	v_div_fixup_f32 v15, v17, v24, v21
	v_fma_f32 v17, v5, v15, -v18
	v_fma_f32 v13, v4, v15, -v13
	v_mul_f32_e32 v11, v17, v17
	v_mul_f32_e32 v16, s9, v15
	v_fma_f32 v15, s9, v15, -v19
	v_fmac_f32_e32 v11, v13, v13
	v_fmac_f32_e32 v11, v15, v15
	v_cmp_lt_f32_e32 vcc, v11, v23
	v_cmp_lt_f32_e64 s[2:3], v16, v0
	s_and_b64 vcc, vcc, s[2:3]
	s_cmp_eq_u32 s15, 0
	v_cndmask_b32_e32 v6, v0, v16, vcc
	s_cbranch_scc0 .LBB1_9
; %bb.10:                               ;   in Loop: Header=BB1_4 Depth=1
	s_add_i32 s2, s14, 56
.LBB1_11:                               ;   in Loop: Header=BB1_4 Depth=1
	s_bitcmp0_b32 s13, 0
	s_cbranch_scc1 .LBB1_3
; %bb.12:                               ;   in Loop: Header=BB1_4 Depth=1
	v_mov_b32_e32 v0, s2
	ds_read2_b32 v[10:11], v0 offset0:4 offset1:5
	ds_read2_b32 v[12:13], v0 offset1:1
	ds_read2_b32 v[14:15], v0 offset0:2 offset1:3
	ds_read_b32 v0, v0 offset:24
	s_waitcnt lgkmcnt(3)
	v_mul_f32_e32 v16, v5, v10
	s_waitcnt lgkmcnt(2)
	v_mul_f32_e32 v10, v13, v10
	s_waitcnt lgkmcnt(1)
	v_fmac_f32_e32 v16, v4, v15
	v_fmac_f32_e32 v10, v12, v15
	;; [unrolled: 1-line block ×4, first 2 shown]
	v_div_scale_f32 v11, s[2:3], v16, v16, v10
	v_div_scale_f32 v15, vcc, v10, v16, v10
	v_rcp_f32_e32 v17, v11
	v_fma_f32 v18, -v11, v17, 1.0
	v_fmac_f32_e32 v17, v18, v17
	v_mul_f32_e32 v18, v15, v17
	v_fma_f32 v19, -v11, v18, v15
	v_fmac_f32_e32 v18, v19, v17
	v_fma_f32 v11, -v11, v18, v15
	v_div_fmas_f32 v11, v11, v17, v18
	v_div_fixup_f32 v10, v11, v16, v10
	v_fma_f32 v13, v5, v10, -v13
	v_fma_f32 v12, v4, v10, -v12
	v_mul_f32_e32 v13, v13, v13
	v_mul_f32_e32 v11, s9, v10
	v_fma_f32 v10, s9, v10, -v14
	v_fmac_f32_e32 v13, v12, v12
	v_fmac_f32_e32 v13, v10, v10
	v_cmp_lt_f32_e32 vcc, v11, v6
	s_waitcnt lgkmcnt(0)
	v_cmp_lt_f32_e64 s[2:3], v13, v0
	s_and_b64 vcc, s[2:3], vcc
	v_cndmask_b32_e32 v6, v6, v11, vcc
	s_branch .LBB1_3
.LBB1_13:
	v_mov_b32_e32 v6, 0x60ad78ec
.LBB1_14:
	v_mad_u64_u32 v[0:1], s[0:1], v3, s10, v[2:3]
	s_mov_b32 s0, 0x42c80000
	v_cmp_nlt_f32_e32 vcc, s0, v6
	v_ashrrev_i32_e32 v1, 31, v0
	v_lshlrev_b64 v[0:1], 2, v[0:1]
	v_cndmask_b32_e32 v2, 0, v6, vcc
	s_waitcnt lgkmcnt(0)
	v_mov_b32_e32 v3, s7
	v_add_co_u32_e32 v0, vcc, s6, v0
	v_addc_co_u32_e32 v1, vcc, v3, v1, vcc
	global_store_dword v[0:1], v2, off
.LBB1_15:
	s_endpgm
	.section	.rodata,"a",@progbits
	.p2align	6, 0x0
	.amdhsa_kernel _Z18surfel_render_tileIfLi256EEvPKT_iS0_iiPS0_
		.amdhsa_group_segment_fixed_size 7168
		.amdhsa_private_segment_fixed_size 0
		.amdhsa_kernarg_size 288
		.amdhsa_user_sgpr_count 6
		.amdhsa_user_sgpr_private_segment_buffer 1
		.amdhsa_user_sgpr_dispatch_ptr 0
		.amdhsa_user_sgpr_queue_ptr 0
		.amdhsa_user_sgpr_kernarg_segment_ptr 1
		.amdhsa_user_sgpr_dispatch_id 0
		.amdhsa_user_sgpr_flat_scratch_init 0
		.amdhsa_user_sgpr_private_segment_size 0
		.amdhsa_uses_dynamic_stack 0
		.amdhsa_system_sgpr_private_segment_wavefront_offset 0
		.amdhsa_system_sgpr_workgroup_id_x 1
		.amdhsa_system_sgpr_workgroup_id_y 1
		.amdhsa_system_sgpr_workgroup_id_z 0
		.amdhsa_system_sgpr_workgroup_info 0
		.amdhsa_system_vgpr_workitem_id 1
		.amdhsa_next_free_vgpr 30
		.amdhsa_next_free_sgpr 61
		.amdhsa_reserve_vcc 1
		.amdhsa_reserve_flat_scratch 0
		.amdhsa_float_round_mode_32 0
		.amdhsa_float_round_mode_16_64 0
		.amdhsa_float_denorm_mode_32 3
		.amdhsa_float_denorm_mode_16_64 3
		.amdhsa_dx10_clamp 1
		.amdhsa_ieee_mode 1
		.amdhsa_fp16_overflow 0
		.amdhsa_exception_fp_ieee_invalid_op 0
		.amdhsa_exception_fp_denorm_src 0
		.amdhsa_exception_fp_ieee_div_zero 0
		.amdhsa_exception_fp_ieee_overflow 0
		.amdhsa_exception_fp_ieee_underflow 0
		.amdhsa_exception_fp_ieee_inexact 0
		.amdhsa_exception_int_div_zero 0
	.end_amdhsa_kernel
	.section	.text._Z18surfel_render_tileIfLi256EEvPKT_iS0_iiPS0_,"axG",@progbits,_Z18surfel_render_tileIfLi256EEvPKT_iS0_iiPS0_,comdat
.Lfunc_end1:
	.size	_Z18surfel_render_tileIfLi256EEvPKT_iS0_iiPS0_, .Lfunc_end1-_Z18surfel_render_tileIfLi256EEvPKT_iS0_iiPS0_
                                        ; -- End function
	.set _Z18surfel_render_tileIfLi256EEvPKT_iS0_iiPS0_.num_vgpr, 30
	.set _Z18surfel_render_tileIfLi256EEvPKT_iS0_iiPS0_.num_agpr, 0
	.set _Z18surfel_render_tileIfLi256EEvPKT_iS0_iiPS0_.numbered_sgpr, 16
	.set _Z18surfel_render_tileIfLi256EEvPKT_iS0_iiPS0_.num_named_barrier, 0
	.set _Z18surfel_render_tileIfLi256EEvPKT_iS0_iiPS0_.private_seg_size, 0
	.set _Z18surfel_render_tileIfLi256EEvPKT_iS0_iiPS0_.uses_vcc, 1
	.set _Z18surfel_render_tileIfLi256EEvPKT_iS0_iiPS0_.uses_flat_scratch, 0
	.set _Z18surfel_render_tileIfLi256EEvPKT_iS0_iiPS0_.has_dyn_sized_stack, 0
	.set _Z18surfel_render_tileIfLi256EEvPKT_iS0_iiPS0_.has_recursion, 0
	.set _Z18surfel_render_tileIfLi256EEvPKT_iS0_iiPS0_.has_indirect_call, 0
	.section	.AMDGPU.csdata,"",@progbits
; Kernel info:
; codeLenInByte = 1044
; TotalNumSgprs: 20
; NumVgprs: 30
; ScratchSize: 0
; MemoryBound: 0
; FloatMode: 240
; IeeeMode: 1
; LDSByteSize: 7168 bytes/workgroup (compile time only)
; SGPRBlocks: 8
; VGPRBlocks: 7
; NumSGPRsForWavesPerEU: 65
; NumVGPRsForWavesPerEU: 30
; Occupancy: 8
; WaveLimiterHint : 0
; COMPUTE_PGM_RSRC2:SCRATCH_EN: 0
; COMPUTE_PGM_RSRC2:USER_SGPR: 6
; COMPUTE_PGM_RSRC2:TRAP_HANDLER: 0
; COMPUTE_PGM_RSRC2:TGID_X_EN: 1
; COMPUTE_PGM_RSRC2:TGID_Y_EN: 1
; COMPUTE_PGM_RSRC2:TGID_Z_EN: 0
; COMPUTE_PGM_RSRC2:TIDIG_COMP_CNT: 1
	.section	.AMDGPU.gpr_maximums,"",@progbits
	.set amdgpu.max_num_vgpr, 0
	.set amdgpu.max_num_agpr, 0
	.set amdgpu.max_num_sgpr, 0
	.section	.AMDGPU.csdata,"",@progbits
	.type	__hip_cuid_9e3e89abd97375ed,@object ; @__hip_cuid_9e3e89abd97375ed
	.section	.bss,"aw",@nobits
	.globl	__hip_cuid_9e3e89abd97375ed
__hip_cuid_9e3e89abd97375ed:
	.byte	0                               ; 0x0
	.size	__hip_cuid_9e3e89abd97375ed, 1

	.ident	"AMD clang version 22.0.0git (https://github.com/RadeonOpenCompute/llvm-project roc-7.2.4 26084 f58b06dce1f9c15707c5f808fd002e18c2accf7e)"
	.section	".note.GNU-stack","",@progbits
	.addrsig
	.addrsig_sym __hip_cuid_9e3e89abd97375ed
	.amdgpu_metadata
---
amdhsa.kernels:
  - .args:
      - .actual_access:  read_only
        .address_space:  global
        .offset:         0
        .size:           8
        .value_kind:     global_buffer
      - .offset:         8
        .size:           4
        .value_kind:     by_value
      - .offset:         12
        .size:           4
        .value_kind:     by_value
      - .offset:         16
        .size:           4
        .value_kind:     by_value
      - .offset:         20
        .size:           4
        .value_kind:     by_value
      - .actual_access:  write_only
        .address_space:  global
        .offset:         24
        .size:           8
        .value_kind:     global_buffer
      - .offset:         32
        .size:           4
        .value_kind:     hidden_block_count_x
      - .offset:         36
        .size:           4
        .value_kind:     hidden_block_count_y
      - .offset:         40
        .size:           4
        .value_kind:     hidden_block_count_z
      - .offset:         44
        .size:           2
        .value_kind:     hidden_group_size_x
      - .offset:         46
        .size:           2
        .value_kind:     hidden_group_size_y
      - .offset:         48
        .size:           2
        .value_kind:     hidden_group_size_z
      - .offset:         50
        .size:           2
        .value_kind:     hidden_remainder_x
      - .offset:         52
        .size:           2
        .value_kind:     hidden_remainder_y
      - .offset:         54
        .size:           2
        .value_kind:     hidden_remainder_z
      - .offset:         72
        .size:           8
        .value_kind:     hidden_global_offset_x
      - .offset:         80
        .size:           8
        .value_kind:     hidden_global_offset_y
      - .offset:         88
        .size:           8
        .value_kind:     hidden_global_offset_z
      - .offset:         96
        .size:           2
        .value_kind:     hidden_grid_dims
    .group_segment_fixed_size: 0
    .kernarg_segment_align: 8
    .kernarg_segment_size: 288
    .language:       OpenCL C
    .language_version:
      - 2
      - 0
    .max_flat_workgroup_size: 1024
    .name:           _Z13surfel_renderIfEvPKT_iS0_iiPS0_
    .private_segment_fixed_size: 0
    .sgpr_count:     20
    .sgpr_spill_count: 0
    .symbol:         _Z13surfel_renderIfEvPKT_iS0_iiPS0_.kd
    .uniform_work_group_size: 1
    .uses_dynamic_stack: false
    .vgpr_count:     12
    .vgpr_spill_count: 0
    .wavefront_size: 64
  - .args:
      - .actual_access:  read_only
        .address_space:  global
        .offset:         0
        .size:           8
        .value_kind:     global_buffer
      - .offset:         8
        .size:           4
        .value_kind:     by_value
      - .offset:         12
        .size:           4
        .value_kind:     by_value
      - .offset:         16
        .size:           4
        .value_kind:     by_value
      - .offset:         20
        .size:           4
        .value_kind:     by_value
      - .actual_access:  write_only
        .address_space:  global
        .offset:         24
        .size:           8
        .value_kind:     global_buffer
      - .offset:         32
        .size:           4
        .value_kind:     hidden_block_count_x
      - .offset:         36
        .size:           4
        .value_kind:     hidden_block_count_y
      - .offset:         40
        .size:           4
        .value_kind:     hidden_block_count_z
      - .offset:         44
        .size:           2
        .value_kind:     hidden_group_size_x
      - .offset:         46
        .size:           2
        .value_kind:     hidden_group_size_y
      - .offset:         48
        .size:           2
        .value_kind:     hidden_group_size_z
      - .offset:         50
        .size:           2
        .value_kind:     hidden_remainder_x
      - .offset:         52
        .size:           2
        .value_kind:     hidden_remainder_y
      - .offset:         54
        .size:           2
        .value_kind:     hidden_remainder_z
      - .offset:         72
        .size:           8
        .value_kind:     hidden_global_offset_x
      - .offset:         80
        .size:           8
        .value_kind:     hidden_global_offset_y
      - .offset:         88
        .size:           8
        .value_kind:     hidden_global_offset_z
      - .offset:         96
        .size:           2
        .value_kind:     hidden_grid_dims
    .group_segment_fixed_size: 7168
    .kernarg_segment_align: 8
    .kernarg_segment_size: 288
    .language:       OpenCL C
    .language_version:
      - 2
      - 0
    .max_flat_workgroup_size: 1024
    .name:           _Z18surfel_render_tileIfLi256EEvPKT_iS0_iiPS0_
    .private_segment_fixed_size: 0
    .sgpr_count:     20
    .sgpr_spill_count: 0
    .symbol:         _Z18surfel_render_tileIfLi256EEvPKT_iS0_iiPS0_.kd
    .uniform_work_group_size: 1
    .uses_dynamic_stack: false
    .vgpr_count:     30
    .vgpr_spill_count: 0
    .wavefront_size: 64
amdhsa.target:   amdgcn-amd-amdhsa--gfx906
amdhsa.version:
  - 1
  - 2
...

	.end_amdgpu_metadata
